;; amdgpu-corpus repo=ROCm/rocFFT kind=compiled arch=gfx1030 opt=O3
	.text
	.amdgcn_target "amdgcn-amd-amdhsa--gfx1030"
	.amdhsa_code_object_version 6
	.protected	fft_rtc_fwd_len780_factors_2_3_13_5_2_wgs_234_tpt_78_halfLds_dp_op_CI_CI_unitstride_sbrr_C2R_dirReg ; -- Begin function fft_rtc_fwd_len780_factors_2_3_13_5_2_wgs_234_tpt_78_halfLds_dp_op_CI_CI_unitstride_sbrr_C2R_dirReg
	.globl	fft_rtc_fwd_len780_factors_2_3_13_5_2_wgs_234_tpt_78_halfLds_dp_op_CI_CI_unitstride_sbrr_C2R_dirReg
	.p2align	8
	.type	fft_rtc_fwd_len780_factors_2_3_13_5_2_wgs_234_tpt_78_halfLds_dp_op_CI_CI_unitstride_sbrr_C2R_dirReg,@function
fft_rtc_fwd_len780_factors_2_3_13_5_2_wgs_234_tpt_78_halfLds_dp_op_CI_CI_unitstride_sbrr_C2R_dirReg: ; @fft_rtc_fwd_len780_factors_2_3_13_5_2_wgs_234_tpt_78_halfLds_dp_op_CI_CI_unitstride_sbrr_C2R_dirReg
; %bb.0:
	s_load_dwordx4 s[12:15], s[4:5], 0x0
	v_mul_u32_u24_e32 v1, 0x349, v0
	s_clause 0x1
	s_load_dwordx4 s[8:11], s[4:5], 0x58
	s_load_dwordx4 s[16:19], s[4:5], 0x18
	v_mov_b32_e32 v5, 0
	v_lshrrev_b32_e32 v3, 16, v1
	v_mov_b32_e32 v1, 0
	v_mov_b32_e32 v2, 0
	v_mad_u64_u32 v[3:4], null, s6, 3, v[3:4]
	v_mov_b32_e32 v4, v5
	v_mov_b32_e32 v53, v2
	;; [unrolled: 1-line block ×5, first 2 shown]
	s_waitcnt lgkmcnt(0)
	v_cmp_lt_u64_e64 s0, s[14:15], 2
	s_and_b32 vcc_lo, exec_lo, s0
	s_cbranch_vccnz .LBB0_8
; %bb.1:
	s_load_dwordx2 s[0:1], s[4:5], 0x10
	v_mov_b32_e32 v1, 0
	v_mov_b32_e32 v2, 0
	s_add_u32 s2, s18, 8
	v_mov_b32_e32 v8, v4
	s_addc_u32 s3, s19, 0
	v_mov_b32_e32 v7, v3
	v_mov_b32_e32 v53, v2
	s_add_u32 s6, s16, 8
	v_mov_b32_e32 v52, v1
	s_addc_u32 s7, s17, 0
	s_mov_b64 s[22:23], 1
	s_waitcnt lgkmcnt(0)
	s_add_u32 s20, s0, 8
	s_addc_u32 s21, s1, 0
.LBB0_2:                                ; =>This Inner Loop Header: Depth=1
	s_load_dwordx2 s[24:25], s[20:21], 0x0
                                        ; implicit-def: $vgpr54_vgpr55
	s_mov_b32 s0, exec_lo
	s_waitcnt lgkmcnt(0)
	v_or_b32_e32 v6, s25, v8
	v_cmpx_ne_u64_e32 0, v[5:6]
	s_xor_b32 s1, exec_lo, s0
	s_cbranch_execz .LBB0_4
; %bb.3:                                ;   in Loop: Header=BB0_2 Depth=1
	v_cvt_f32_u32_e32 v4, s24
	v_cvt_f32_u32_e32 v6, s25
	s_sub_u32 s0, 0, s24
	s_subb_u32 s26, 0, s25
	v_fmac_f32_e32 v4, 0x4f800000, v6
	v_rcp_f32_e32 v4, v4
	v_mul_f32_e32 v4, 0x5f7ffffc, v4
	v_mul_f32_e32 v6, 0x2f800000, v4
	v_trunc_f32_e32 v6, v6
	v_fmac_f32_e32 v4, 0xcf800000, v6
	v_cvt_u32_f32_e32 v6, v6
	v_cvt_u32_f32_e32 v4, v4
	v_mul_lo_u32 v9, s0, v6
	v_mul_hi_u32 v10, s0, v4
	v_mul_lo_u32 v11, s26, v4
	v_add_nc_u32_e32 v9, v10, v9
	v_mul_lo_u32 v10, s0, v4
	v_add_nc_u32_e32 v9, v9, v11
	v_mul_hi_u32 v11, v4, v10
	v_mul_lo_u32 v12, v4, v9
	v_mul_hi_u32 v13, v4, v9
	v_mul_hi_u32 v14, v6, v10
	v_mul_lo_u32 v10, v6, v10
	v_mul_hi_u32 v15, v6, v9
	v_mul_lo_u32 v9, v6, v9
	v_add_co_u32 v11, vcc_lo, v11, v12
	v_add_co_ci_u32_e32 v12, vcc_lo, 0, v13, vcc_lo
	v_add_co_u32 v10, vcc_lo, v11, v10
	v_add_co_ci_u32_e32 v10, vcc_lo, v12, v14, vcc_lo
	v_add_co_ci_u32_e32 v11, vcc_lo, 0, v15, vcc_lo
	v_add_co_u32 v9, vcc_lo, v10, v9
	v_add_co_ci_u32_e32 v10, vcc_lo, 0, v11, vcc_lo
	v_add_co_u32 v4, vcc_lo, v4, v9
	v_add_co_ci_u32_e32 v6, vcc_lo, v6, v10, vcc_lo
	v_mul_hi_u32 v9, s0, v4
	v_mul_lo_u32 v11, s26, v4
	v_mul_lo_u32 v10, s0, v6
	v_add_nc_u32_e32 v9, v9, v10
	v_mul_lo_u32 v10, s0, v4
	v_add_nc_u32_e32 v9, v9, v11
	v_mul_hi_u32 v11, v4, v10
	v_mul_lo_u32 v12, v4, v9
	v_mul_hi_u32 v13, v4, v9
	v_mul_hi_u32 v14, v6, v10
	v_mul_lo_u32 v10, v6, v10
	v_mul_hi_u32 v15, v6, v9
	v_mul_lo_u32 v9, v6, v9
	v_add_co_u32 v11, vcc_lo, v11, v12
	v_add_co_ci_u32_e32 v12, vcc_lo, 0, v13, vcc_lo
	v_add_co_u32 v10, vcc_lo, v11, v10
	v_add_co_ci_u32_e32 v10, vcc_lo, v12, v14, vcc_lo
	v_add_co_ci_u32_e32 v11, vcc_lo, 0, v15, vcc_lo
	v_add_co_u32 v9, vcc_lo, v10, v9
	v_add_co_ci_u32_e32 v10, vcc_lo, 0, v11, vcc_lo
	v_add_co_u32 v4, vcc_lo, v4, v9
	v_add_co_ci_u32_e32 v6, vcc_lo, v6, v10, vcc_lo
	v_mul_hi_u32 v15, v7, v4
	v_mad_u64_u32 v[11:12], null, v8, v4, 0
	v_mad_u64_u32 v[9:10], null, v7, v6, 0
	;; [unrolled: 1-line block ×3, first 2 shown]
	v_add_co_u32 v4, vcc_lo, v15, v9
	v_add_co_ci_u32_e32 v6, vcc_lo, 0, v10, vcc_lo
	v_add_co_u32 v4, vcc_lo, v4, v11
	v_add_co_ci_u32_e32 v4, vcc_lo, v6, v12, vcc_lo
	v_add_co_ci_u32_e32 v6, vcc_lo, 0, v14, vcc_lo
	v_add_co_u32 v4, vcc_lo, v4, v13
	v_add_co_ci_u32_e32 v6, vcc_lo, 0, v6, vcc_lo
	v_mul_lo_u32 v11, s25, v4
	v_mad_u64_u32 v[9:10], null, s24, v4, 0
	v_mul_lo_u32 v12, s24, v6
	v_sub_co_u32 v9, vcc_lo, v7, v9
	v_add3_u32 v10, v10, v12, v11
	v_sub_nc_u32_e32 v11, v8, v10
	v_subrev_co_ci_u32_e64 v11, s0, s25, v11, vcc_lo
	v_add_co_u32 v12, s0, v4, 2
	v_add_co_ci_u32_e64 v13, s0, 0, v6, s0
	v_sub_co_u32 v14, s0, v9, s24
	v_sub_co_ci_u32_e32 v10, vcc_lo, v8, v10, vcc_lo
	v_subrev_co_ci_u32_e64 v11, s0, 0, v11, s0
	v_cmp_le_u32_e32 vcc_lo, s24, v14
	v_cmp_eq_u32_e64 s0, s25, v10
	v_cndmask_b32_e64 v14, 0, -1, vcc_lo
	v_cmp_le_u32_e32 vcc_lo, s25, v11
	v_cndmask_b32_e64 v15, 0, -1, vcc_lo
	v_cmp_le_u32_e32 vcc_lo, s24, v9
	;; [unrolled: 2-line block ×3, first 2 shown]
	v_cndmask_b32_e64 v16, 0, -1, vcc_lo
	v_cmp_eq_u32_e32 vcc_lo, s25, v11
	v_cndmask_b32_e64 v9, v16, v9, s0
	v_cndmask_b32_e32 v11, v15, v14, vcc_lo
	v_add_co_u32 v14, vcc_lo, v4, 1
	v_add_co_ci_u32_e32 v15, vcc_lo, 0, v6, vcc_lo
	v_cmp_ne_u32_e32 vcc_lo, 0, v11
	v_cndmask_b32_e32 v10, v15, v13, vcc_lo
	v_cndmask_b32_e32 v11, v14, v12, vcc_lo
	v_cmp_ne_u32_e32 vcc_lo, 0, v9
	v_cndmask_b32_e32 v55, v6, v10, vcc_lo
	v_cndmask_b32_e32 v54, v4, v11, vcc_lo
.LBB0_4:                                ;   in Loop: Header=BB0_2 Depth=1
	s_andn2_saveexec_b32 s0, s1
	s_cbranch_execz .LBB0_6
; %bb.5:                                ;   in Loop: Header=BB0_2 Depth=1
	v_cvt_f32_u32_e32 v4, s24
	s_sub_i32 s1, 0, s24
	v_mov_b32_e32 v55, v5
	v_rcp_iflag_f32_e32 v4, v4
	v_mul_f32_e32 v4, 0x4f7ffffe, v4
	v_cvt_u32_f32_e32 v4, v4
	v_mul_lo_u32 v6, s1, v4
	v_mul_hi_u32 v6, v4, v6
	v_add_nc_u32_e32 v4, v4, v6
	v_mul_hi_u32 v4, v7, v4
	v_mul_lo_u32 v6, v4, s24
	v_add_nc_u32_e32 v9, 1, v4
	v_sub_nc_u32_e32 v6, v7, v6
	v_subrev_nc_u32_e32 v10, s24, v6
	v_cmp_le_u32_e32 vcc_lo, s24, v6
	v_cndmask_b32_e32 v6, v6, v10, vcc_lo
	v_cndmask_b32_e32 v4, v4, v9, vcc_lo
	v_cmp_le_u32_e32 vcc_lo, s24, v6
	v_add_nc_u32_e32 v9, 1, v4
	v_cndmask_b32_e32 v54, v4, v9, vcc_lo
.LBB0_6:                                ;   in Loop: Header=BB0_2 Depth=1
	s_or_b32 exec_lo, exec_lo, s0
	v_mul_lo_u32 v4, v55, s24
	v_mul_lo_u32 v6, v54, s25
	s_load_dwordx2 s[0:1], s[6:7], 0x0
	v_mad_u64_u32 v[9:10], null, v54, s24, 0
	s_load_dwordx2 s[24:25], s[2:3], 0x0
	s_add_u32 s22, s22, 1
	s_addc_u32 s23, s23, 0
	s_add_u32 s2, s2, 8
	s_addc_u32 s3, s3, 0
	s_add_u32 s6, s6, 8
	v_add3_u32 v4, v10, v6, v4
	v_sub_co_u32 v6, vcc_lo, v7, v9
	s_addc_u32 s7, s7, 0
	s_add_u32 s20, s20, 8
	v_sub_co_ci_u32_e32 v4, vcc_lo, v8, v4, vcc_lo
	s_addc_u32 s21, s21, 0
	s_waitcnt lgkmcnt(0)
	v_mul_lo_u32 v7, s0, v4
	v_mul_lo_u32 v8, s1, v6
	v_mad_u64_u32 v[1:2], null, s0, v6, v[1:2]
	v_mul_lo_u32 v4, s24, v4
	v_mul_lo_u32 v9, s25, v6
	v_mad_u64_u32 v[52:53], null, s24, v6, v[52:53]
	v_cmp_ge_u64_e64 s0, s[22:23], s[14:15]
	v_add3_u32 v2, v8, v2, v7
	v_add3_u32 v53, v9, v53, v4
	s_and_b32 vcc_lo, exec_lo, s0
	s_cbranch_vccnz .LBB0_8
; %bb.7:                                ;   in Loop: Header=BB0_2 Depth=1
	v_mov_b32_e32 v7, v54
	v_mov_b32_e32 v8, v55
	s_branch .LBB0_2
.LBB0_8:
	s_load_dwordx2 s[0:1], s[4:5], 0x28
	v_mul_hi_u32 v4, 0xaaaaaaab, v3
	v_mul_hi_u32 v6, 0x3483484, v0
	s_lshl_b64 s[4:5], s[14:15], 3
                                        ; implicit-def: $vgpr56
	s_add_u32 s2, s18, s4
	s_addc_u32 s3, s19, s5
	v_lshrrev_b32_e32 v4, 1, v4
	v_lshl_add_u32 v4, v4, 1, v4
	v_sub_nc_u32_e32 v3, v3, v4
	s_waitcnt lgkmcnt(0)
	v_cmp_gt_u64_e32 vcc_lo, s[0:1], v[54:55]
	v_cmp_le_u64_e64 s0, s[0:1], v[54:55]
                                        ; implicit-def: $vgpr4_vgpr5
	s_and_saveexec_b32 s1, s0
	s_xor_b32 s0, exec_lo, s1
; %bb.9:
	v_mul_u32_u24_e32 v1, 0x4e, v6
	v_mov_b32_e32 v57, 0
                                        ; implicit-def: $vgpr6
	v_sub_nc_u32_e32 v56, v0, v1
                                        ; implicit-def: $vgpr0
                                        ; implicit-def: $vgpr1_vgpr2
	v_mov_b32_e32 v4, v56
	v_mov_b32_e32 v5, v57
; %bb.10:
	s_or_saveexec_b32 s1, s0
	s_load_dwordx2 s[2:3], s[2:3], 0x0
	v_mul_u32_u24_e32 v168, 0x30d, v3
	v_lshlrev_b32_e32 v172, 4, v168
	s_xor_b32 exec_lo, exec_lo, s1
	s_cbranch_execz .LBB0_14
; %bb.11:
	s_add_u32 s4, s16, s4
	s_addc_u32 s5, s17, s5
	v_lshlrev_b64 v[1:2], 4, v[1:2]
	s_load_dwordx2 s[4:5], s[4:5], 0x0
	v_mov_b32_e32 v57, 0
	s_waitcnt lgkmcnt(0)
	v_mul_lo_u32 v5, s5, v54
	v_mul_lo_u32 v7, s4, v55
	v_mad_u64_u32 v[3:4], null, s4, v54, 0
	s_mov_b32 s4, exec_lo
	v_add3_u32 v4, v4, v7, v5
	v_mul_u32_u24_e32 v5, 0x4e, v6
	v_lshlrev_b64 v[3:4], 4, v[3:4]
	v_sub_nc_u32_e32 v56, v0, v5
	v_lshlrev_b32_e32 v46, 4, v56
	v_add_co_u32 v0, s0, s8, v3
	v_add_co_ci_u32_e64 v3, s0, s9, v4, s0
	v_add_co_u32 v0, s0, v0, v1
	v_add_co_ci_u32_e64 v1, s0, v3, v2, s0
	;; [unrolled: 2-line block ×3, first 2 shown]
	s_clause 0x1
	global_load_dwordx4 v[6:9], v[2:3], off
	global_load_dwordx4 v[10:13], v[2:3], off offset:1248
	v_add_co_u32 v4, s0, 0x800, v2
	v_add_co_ci_u32_e64 v5, s0, 0, v3, s0
	v_add_co_u32 v22, s0, 0x1000, v2
	v_add_co_ci_u32_e64 v23, s0, 0, v3, s0
	;; [unrolled: 2-line block ×5, first 2 shown]
	s_clause 0x7
	global_load_dwordx4 v[14:17], v[4:5], off offset:448
	global_load_dwordx4 v[18:21], v[4:5], off offset:1696
	;; [unrolled: 1-line block ×8, first 2 shown]
	v_mov_b32_e32 v4, v56
	v_add3_u32 v2, 0, v172, v46
	v_mov_b32_e32 v5, v57
	s_waitcnt vmcnt(9)
	ds_write_b128 v2, v[6:9]
	s_waitcnt vmcnt(8)
	ds_write_b128 v2, v[10:13] offset:1248
	s_waitcnt vmcnt(7)
	ds_write_b128 v2, v[14:17] offset:2496
	;; [unrolled: 2-line block ×9, first 2 shown]
	v_cmpx_eq_u32_e32 0x4d, v56
	s_cbranch_execz .LBB0_13
; %bb.12:
	v_add_co_u32 v0, s0, 0x3000, v0
	v_add_co_ci_u32_e64 v1, s0, 0, v1, s0
	v_mov_b32_e32 v4, 0x4d
	v_mov_b32_e32 v5, 0
	;; [unrolled: 1-line block ×3, first 2 shown]
	global_load_dwordx4 v[6:9], v[0:1], off offset:192
	s_waitcnt vmcnt(0)
	ds_write_b128 v2, v[6:9] offset:11248
.LBB0_13:
	s_or_b32 exec_lo, exec_lo, s4
.LBB0_14:
	s_or_b32 exec_lo, exec_lo, s1
	v_lshl_add_u32 v169, v168, 4, 0
	v_lshlrev_b32_e32 v10, 4, v56
	s_waitcnt lgkmcnt(0)
	s_barrier
	buffer_gl0_inv
	v_lshlrev_b64 v[58:59], 4, v[4:5]
	v_add_nc_u32_e32 v170, v169, v10
	v_sub_nc_u32_e32 v11, v169, v10
	s_add_u32 s1, s12, 0x30a0
	s_addc_u32 s4, s13, 0
	ds_read_b64 v[6:7], v170
	ds_read_b64 v[8:9], v11 offset:12480
	s_mov_b32 s5, exec_lo
	s_waitcnt lgkmcnt(0)
	v_add_f64 v[0:1], v[6:7], v[8:9]
	v_add_f64 v[2:3], v[6:7], -v[8:9]
	v_cmpx_ne_u32_e32 0, v56
	s_xor_b32 s5, exec_lo, s5
	s_cbranch_execz .LBB0_16
; %bb.15:
	v_add_co_u32 v0, s0, s1, v58
	v_add_co_ci_u32_e64 v1, s0, s4, v59, s0
	v_add_f64 v[14:15], v[6:7], v[8:9]
	v_add_f64 v[8:9], v[6:7], -v[8:9]
	global_load_dwordx4 v[2:5], v[0:1], off
	ds_read_b64 v[0:1], v11 offset:12488
	ds_read_b64 v[12:13], v170 offset:8
	s_waitcnt lgkmcnt(0)
	v_add_f64 v[6:7], v[0:1], v[12:13]
	v_add_f64 v[0:1], v[12:13], -v[0:1]
	s_waitcnt vmcnt(0)
	v_fma_f64 v[12:13], v[8:9], v[4:5], v[14:15]
	v_fma_f64 v[14:15], -v[8:9], v[4:5], v[14:15]
	v_fma_f64 v[16:17], v[6:7], v[4:5], -v[0:1]
	v_fma_f64 v[18:19], v[6:7], v[4:5], v[0:1]
	v_fma_f64 v[0:1], -v[6:7], v[2:3], v[12:13]
	v_fma_f64 v[4:5], v[6:7], v[2:3], v[14:15]
	v_fma_f64 v[6:7], v[8:9], v[2:3], v[16:17]
	;; [unrolled: 1-line block ×3, first 2 shown]
	ds_write_b128 v11, v[4:7] offset:12480
.LBB0_16:
	s_andn2_saveexec_b32 s0, s5
	s_cbranch_execz .LBB0_18
; %bb.17:
	ds_read_b128 v[4:7], v169 offset:6240
	s_waitcnt lgkmcnt(0)
	v_add_f64 v[4:5], v[4:5], v[4:5]
	v_mul_f64 v[6:7], v[6:7], -2.0
	ds_write_b128 v169, v[4:7] offset:6240
.LBB0_18:
	s_or_b32 exec_lo, exec_lo, s0
	v_mov_b32_e32 v57, 0
	v_add_nc_u32_e32 v171, 0, v10
	v_add_nc_u32_e32 v49, 0x4e, v56
	;; [unrolled: 1-line block ×4, first 2 shown]
	v_lshlrev_b64 v[60:61], 4, v[56:57]
	v_add_nc_u32_e32 v57, v171, v172
	v_add_nc_u32_e32 v10, v57, v10
	v_add_co_u32 v8, s0, s1, v60
	v_add_co_ci_u32_e64 v9, s0, s4, v61, s0
	v_add_co_u32 v16, s0, 0x800, v8
	global_load_dwordx4 v[4:7], v[8:9], off offset:1248
	v_add_co_ci_u32_e64 v17, s0, 0, v9, s0
	v_add_co_u32 v8, s0, 0x1000, v8
	s_clause 0x1
	global_load_dwordx4 v[12:15], v[16:17], off offset:448
	global_load_dwordx4 v[16:19], v[16:17], off offset:1696
	v_add_co_ci_u32_e64 v9, s0, 0, v9, s0
	ds_write_b128 v170, v[0:3]
	ds_read_b128 v[0:3], v170 offset:1248
	ds_read_b128 v[20:23], v11 offset:11232
	v_cmp_gt_u32_e64 s0, 26, v56
	global_load_dwordx4 v[24:27], v[8:9], off offset:896
	s_waitcnt lgkmcnt(0)
	v_add_f64 v[8:9], v[0:1], v[20:21]
	v_add_f64 v[28:29], v[22:23], v[2:3]
	v_add_f64 v[20:21], v[0:1], -v[20:21]
	v_add_f64 v[0:1], v[2:3], -v[22:23]
	s_waitcnt vmcnt(3)
	v_fma_f64 v[2:3], v[20:21], v[6:7], v[8:9]
	v_fma_f64 v[22:23], v[28:29], v[6:7], v[0:1]
	v_fma_f64 v[8:9], -v[20:21], v[6:7], v[8:9]
	v_fma_f64 v[30:31], v[28:29], v[6:7], -v[0:1]
	v_fma_f64 v[0:1], -v[28:29], v[4:5], v[2:3]
	v_fma_f64 v[2:3], v[20:21], v[4:5], v[22:23]
	v_fma_f64 v[6:7], v[28:29], v[4:5], v[8:9]
	v_fma_f64 v[8:9], v[20:21], v[4:5], v[30:31]
	ds_write_b128 v170, v[0:3] offset:1248
	ds_write_b128 v11, v[6:9] offset:11232
	ds_read_b128 v[0:3], v170 offset:2496
	ds_read_b128 v[4:7], v11 offset:9984
	s_waitcnt lgkmcnt(0)
	v_add_f64 v[8:9], v[0:1], v[4:5]
	v_add_f64 v[20:21], v[6:7], v[2:3]
	v_add_f64 v[22:23], v[0:1], -v[4:5]
	v_add_f64 v[0:1], v[2:3], -v[6:7]
	s_waitcnt vmcnt(2)
	v_fma_f64 v[2:3], v[22:23], v[14:15], v[8:9]
	v_fma_f64 v[4:5], v[20:21], v[14:15], v[0:1]
	v_fma_f64 v[6:7], -v[22:23], v[14:15], v[8:9]
	v_fma_f64 v[8:9], v[20:21], v[14:15], -v[0:1]
	v_fma_f64 v[0:1], -v[20:21], v[12:13], v[2:3]
	v_fma_f64 v[2:3], v[22:23], v[12:13], v[4:5]
	v_fma_f64 v[4:5], v[20:21], v[12:13], v[6:7]
	v_fma_f64 v[6:7], v[22:23], v[12:13], v[8:9]
	ds_write_b128 v170, v[0:3] offset:2496
	ds_write_b128 v11, v[4:7] offset:9984
	ds_read_b128 v[0:3], v170 offset:3744
	ds_read_b128 v[4:7], v11 offset:8736
	;; [unrolled: 18-line block ×3, first 2 shown]
	s_waitcnt lgkmcnt(0)
	v_add_f64 v[8:9], v[0:1], v[4:5]
	v_add_f64 v[12:13], v[6:7], v[2:3]
	v_add_f64 v[14:15], v[0:1], -v[4:5]
	v_add_f64 v[0:1], v[2:3], -v[6:7]
	s_waitcnt vmcnt(0)
	v_fma_f64 v[2:3], v[14:15], v[26:27], v[8:9]
	v_fma_f64 v[4:5], v[12:13], v[26:27], v[0:1]
	v_fma_f64 v[6:7], -v[14:15], v[26:27], v[8:9]
	v_fma_f64 v[8:9], v[12:13], v[26:27], -v[0:1]
	v_fma_f64 v[0:1], -v[12:13], v[24:25], v[2:3]
	v_fma_f64 v[2:3], v[14:15], v[24:25], v[4:5]
	v_fma_f64 v[4:5], v[12:13], v[24:25], v[6:7]
	v_fma_f64 v[6:7], v[14:15], v[24:25], v[8:9]
	v_lshlrev_b32_e32 v9, 5, v49
	v_lshlrev_b32_e32 v8, 5, v56
	ds_write_b128 v170, v[0:3] offset:4992
	ds_write_b128 v11, v[4:7] offset:7488
	s_waitcnt lgkmcnt(0)
	s_barrier
	buffer_gl0_inv
	s_barrier
	buffer_gl0_inv
	ds_read_b128 v[0:3], v57 offset:6240
	ds_read_b128 v[4:7], v170
	ds_read_b128 v[11:14], v57 offset:1248
	ds_read_b128 v[15:18], v57 offset:7488
	;; [unrolled: 1-line block ×8, first 2 shown]
	v_add3_u32 v9, 0, v9, v172
	v_add3_u32 v8, v8, 0, v172
	s_waitcnt lgkmcnt(0)
	s_barrier
	buffer_gl0_inv
	v_add_f64 v[43:44], v[4:5], -v[0:1]
	v_add_f64 v[45:46], v[6:7], -v[2:3]
	;; [unrolled: 1-line block ×10, first 2 shown]
	v_lshlrev_b32_e32 v39, 5, v48
	v_lshlrev_b32_e32 v40, 5, v62
	v_add3_u32 v39, 0, v39, v172
	v_add3_u32 v40, 0, v40, v172
	v_fma_f64 v[4:5], v[4:5], 2.0, -v[43:44]
	v_fma_f64 v[6:7], v[6:7], 2.0, -v[45:46]
	;; [unrolled: 1-line block ×10, first 2 shown]
	ds_write_b128 v10, v[43:46] offset:16
	ds_write_b128 v9, v[15:18] offset:16
	;; [unrolled: 1-line block ×5, first 2 shown]
	ds_write_b128 v10, v[4:7]
	ds_write_b128 v9, v[11:14]
	;; [unrolled: 1-line block ×4, first 2 shown]
	ds_write_b128 v8, v[35:38] offset:9984
	s_waitcnt lgkmcnt(0)
	s_barrier
	buffer_gl0_inv
	ds_read_b128 v[8:11], v170
	ds_read_b128 v[4:7], v57 offset:1248
	ds_read_b128 v[32:35], v57 offset:8320
	;; [unrolled: 1-line block ×8, first 2 shown]
                                        ; implicit-def: $vgpr22_vgpr23
                                        ; implicit-def: $vgpr18_vgpr19
	s_and_saveexec_b32 s1, s0
	s_cbranch_execz .LBB0_20
; %bb.19:
	ds_read_b128 v[0:3], v57 offset:3744
	ds_read_b128 v[16:19], v57 offset:7904
	ds_read_b128 v[20:23], v57 offset:12064
.LBB0_20:
	s_or_b32 exec_lo, exec_lo, s1
	v_and_b32_e32 v63, 1, v56
	s_mov_b32 s4, 0xe8584caa
	s_mov_b32 s5, 0x3febb67a
	s_mov_b32 s7, 0xbfebb67a
	s_mov_b32 s6, s4
	v_lshlrev_b32_e32 v50, 5, v63
	s_clause 0x1
	global_load_dwordx4 v[64:67], v50, s[12:13]
	global_load_dwordx4 v[68:71], v50, s[12:13] offset:16
	s_waitcnt vmcnt(0) lgkmcnt(0)
	s_barrier
	buffer_gl0_inv
	v_mul_f64 v[50:51], v[46:47], v[66:67]
	v_mul_f64 v[72:73], v[44:45], v[66:67]
	;; [unrolled: 1-line block ×16, first 2 shown]
	v_fma_f64 v[44:45], v[44:45], v[64:65], -v[50:51]
	v_fma_f64 v[46:47], v[46:47], v[64:65], v[72:73]
	v_fma_f64 v[32:33], v[32:33], v[68:69], -v[74:75]
	v_fma_f64 v[34:35], v[34:35], v[68:69], v[76:77]
	;; [unrolled: 2-line block ×6, first 2 shown]
	v_fma_f64 v[16:17], v[16:17], v[64:65], -v[94:95]
	v_fma_f64 v[20:21], v[20:21], v[68:69], -v[96:97]
	v_fma_f64 v[18:19], v[18:19], v[64:65], v[66:67]
	v_fma_f64 v[22:23], v[22:23], v[68:69], v[70:71]
	v_lshrrev_b32_e32 v50, 1, v56
	v_lshrrev_b32_e32 v64, 1, v49
	;; [unrolled: 1-line block ×3, first 2 shown]
	v_mul_u32_u24_e32 v68, 6, v50
	v_mul_u32_u24_e32 v96, 6, v64
	;; [unrolled: 1-line block ×3, first 2 shown]
	v_add_f64 v[48:49], v[44:45], v[32:33]
	v_add_f64 v[50:51], v[46:47], v[34:35]
	v_or_b32_e32 v98, v68, v63
	v_add_f64 v[72:73], v[8:9], v[44:45]
	v_add_f64 v[64:65], v[40:41], v[24:25]
	;; [unrolled: 1-line block ×14, first 2 shown]
	v_add_f64 v[92:93], v[46:47], -v[34:35]
	v_add_f64 v[94:95], v[44:45], -v[32:33]
	;; [unrolled: 1-line block ×5, first 2 shown]
	v_fma_f64 v[8:9], v[48:49], -0.5, v[8:9]
	v_fma_f64 v[10:11], v[50:51], -0.5, v[10:11]
	v_add_f64 v[36:37], v[36:37], -v[28:29]
	v_add_f64 v[18:19], v[18:19], -v[22:23]
	v_fma_f64 v[48:49], v[64:65], -0.5, v[4:5]
	v_fma_f64 v[50:51], v[66:67], -0.5, v[6:7]
	;; [unrolled: 1-line block ×4, first 2 shown]
	v_add_f64 v[68:69], v[16:17], -v[20:21]
	v_fma_f64 v[70:71], v[76:77], -0.5, v[0:1]
	v_add_f64 v[0:1], v[72:73], v[32:33]
	v_fma_f64 v[72:73], v[80:81], -0.5, v[2:3]
	v_add_f64 v[2:3], v[74:75], v[34:35]
	v_add_f64 v[12:13], v[78:79], v[24:25]
	;; [unrolled: 1-line block ×7, first 2 shown]
	v_fma_f64 v[28:29], v[92:93], s[4:5], v[8:9]
	v_fma_f64 v[4:5], v[92:93], s[6:7], v[8:9]
	;; [unrolled: 1-line block ×16, first 2 shown]
	v_or_b32_e32 v36, v96, v63
	v_or_b32_e32 v37, v97, v63
	v_lshlrev_b32_e32 v38, 4, v98
	v_lshlrev_b32_e32 v36, 4, v36
	;; [unrolled: 1-line block ×3, first 2 shown]
	v_add3_u32 v38, 0, v38, v172
	v_add3_u32 v36, 0, v36, v172
	;; [unrolled: 1-line block ×3, first 2 shown]
	ds_write_b128 v38, v[0:3]
	ds_write_b128 v38, v[28:31] offset:32
	ds_write_b128 v38, v[4:7] offset:64
	ds_write_b128 v36, v[12:15]
	ds_write_b128 v36, v[24:27] offset:32
	ds_write_b128 v36, v[32:35] offset:64
	;; [unrolled: 3-line block ×3, first 2 shown]
	s_and_saveexec_b32 s1, s0
	s_cbranch_execz .LBB0_22
; %bb.21:
	v_lshrrev_b32_e32 v36, 1, v62
	v_mul_u32_u24_e32 v36, 6, v36
	v_or_b32_e32 v36, v36, v63
	v_lshlrev_b32_e32 v36, 4, v36
	v_add3_u32 v36, 0, v36, v172
	ds_write_b128 v36, v[20:23]
	ds_write_b128 v36, v[16:19] offset:32
	ds_write_b128 v36, v[8:11] offset:64
.LBB0_22:
	s_or_b32 exec_lo, exec_lo, s1
	v_cmp_gt_u32_e64 s0, 60, v56
	s_waitcnt lgkmcnt(0)
	s_barrier
	buffer_gl0_inv
                                        ; implicit-def: $vgpr38_vgpr39
	s_and_saveexec_b32 s1, s0
	s_cbranch_execz .LBB0_24
; %bb.23:
	ds_read_b128 v[0:3], v170
	ds_read_b128 v[28:31], v57 offset:960
	ds_read_b128 v[4:7], v57 offset:1920
	;; [unrolled: 1-line block ×12, first 2 shown]
.LBB0_24:
	s_or_b32 exec_lo, exec_lo, s1
	s_waitcnt lgkmcnt(0)
	s_barrier
	buffer_gl0_inv
	s_and_saveexec_b32 s33, s0
	s_cbranch_execz .LBB0_26
; %bb.25:
	v_and_b32_e32 v62, 0xff, v56
	v_mov_b32_e32 v63, 12
	s_mov_b32 s8, 0xebaa3ed8
	s_mov_b32 s0, 0xb2365da1
	;; [unrolled: 1-line block ×3, first 2 shown]
	v_mul_lo_u16 v62, 0xab, v62
	s_mov_b32 s4, 0xd0032e0c
	s_mov_b32 s26, 0xe00740e9
	;; [unrolled: 1-line block ×4, first 2 shown]
	v_lshrrev_b16 v173, 10, v62
	s_mov_b32 s1, 0xbfd6b1d8
	s_mov_b32 s21, 0x3fe22d96
	;; [unrolled: 1-line block ×4, first 2 shown]
	v_mul_lo_u16 v62, v173, 6
	s_mov_b32 s7, 0xbfef11f4
	s_mov_b32 s22, 0x66966769
	;; [unrolled: 1-line block ×4, first 2 shown]
	v_sub_nc_u16 v174, v56, v62
	s_mov_b32 s16, 0x24c2f84
	s_mov_b32 s28, 0x4267c47c
	;; [unrolled: 1-line block ×4, first 2 shown]
	v_mul_u32_u24_sdwa v62, v174, v63 dst_sel:DWORD dst_unused:UNUSED_PAD src0_sel:BYTE_0 src1_sel:DWORD
	s_mov_b32 s15, 0x3fedeba7
	s_mov_b32 s41, 0xbfea55e2
	;; [unrolled: 1-line block ×4, first 2 shown]
	v_lshlrev_b32_e32 v76, 4, v62
	s_mov_b32 s19, 0x3fcea1e5
	s_mov_b32 s25, 0x3fefc445
	;; [unrolled: 1-line block ×4, first 2 shown]
	s_clause 0x1
	global_load_dwordx4 v[64:67], v76, s[12:13] offset:144
	global_load_dwordx4 v[68:71], v76, s[12:13] offset:128
	s_mov_b32 s35, 0xbfe5384d
	s_mov_b32 s39, 0x3fddbe06
	;; [unrolled: 1-line block ×9, first 2 shown]
	s_waitcnt vmcnt(1)
	v_mul_f64 v[62:63], v[44:45], v[66:67]
	v_fma_f64 v[62:63], v[46:47], v[64:65], v[62:63]
	v_mul_f64 v[46:47], v[46:47], v[66:67]
	v_fma_f64 v[44:45], v[44:45], v[64:65], -v[46:47]
	s_clause 0x1
	global_load_dwordx4 v[64:67], v76, s[12:13] offset:160
	global_load_dwordx4 v[72:75], v76, s[12:13] offset:176
	s_waitcnt vmcnt(1)
	v_mul_f64 v[46:47], v[48:49], v[66:67]
	v_fma_f64 v[46:47], v[50:51], v[64:65], v[46:47]
	v_mul_f64 v[50:51], v[50:51], v[66:67]
	v_add_f64 v[138:139], v[62:63], v[46:47]
	v_fma_f64 v[48:49], v[48:49], v[64:65], -v[50:51]
	v_mul_f64 v[50:51], v[32:33], v[70:71]
	v_add_f64 v[140:141], v[62:63], -v[46:47]
	v_mul_f64 v[164:165], v[138:139], s[8:9]
	v_add_f64 v[124:125], v[44:45], v[48:49]
	v_fma_f64 v[50:51], v[34:35], v[68:69], v[50:51]
	v_mul_f64 v[34:35], v[34:35], v[70:71]
	v_mul_f64 v[166:167], v[140:141], s[24:25]
	v_fma_f64 v[34:35], v[32:33], v[68:69], -v[34:35]
	s_clause 0x1
	global_load_dwordx4 v[64:67], v76, s[12:13] offset:112
	global_load_dwordx4 v[68:71], v76, s[12:13] offset:96
	s_waitcnt vmcnt(2)
	v_mul_f64 v[32:33], v[40:41], v[74:75]
	v_fma_f64 v[32:33], v[42:43], v[72:73], v[32:33]
	v_mul_f64 v[42:43], v[42:43], v[74:75]
	v_add_f64 v[134:135], v[50:51], v[32:33]
	v_fma_f64 v[40:41], v[40:41], v[72:73], -v[42:43]
	v_add_f64 v[136:137], v[50:51], -v[32:33]
	v_mul_f64 v[160:161], v[136:137], s[36:37]
	s_waitcnt vmcnt(1)
	v_mul_f64 v[42:43], v[24:25], v[66:67]
	v_fma_f64 v[42:43], v[26:27], v[64:65], v[42:43]
	v_mul_f64 v[26:27], v[26:27], v[66:67]
	v_fma_f64 v[64:65], v[24:25], v[64:65], -v[26:27]
	s_clause 0x1
	global_load_dwordx4 v[72:75], v76, s[12:13] offset:64
	global_load_dwordx4 v[24:27], v76, s[12:13] offset:80
	s_waitcnt vmcnt(1)
	v_mul_f64 v[66:67], v[28:29], v[74:75]
	v_fma_f64 v[78:79], v[30:31], v[72:73], v[66:67]
	v_mul_f64 v[30:31], v[30:31], v[74:75]
	v_fma_f64 v[80:81], v[28:29], v[72:73], -v[30:31]
	s_clause 0x1
	global_load_dwordx4 v[72:75], v76, s[12:13] offset:240
	global_load_dwordx4 v[28:31], v76, s[12:13] offset:224
	;; [unrolled: 8-line block ×3, first 2 shown]
	v_add_f64 v[96:97], v[80:81], v[36:37]
	s_waitcnt vmcnt(1)
	v_mul_f64 v[38:39], v[20:21], v[74:75]
	v_fma_f64 v[38:39], v[22:23], v[72:73], v[38:39]
	v_mul_f64 v[22:23], v[22:23], v[74:75]
	v_add_f64 v[130:131], v[42:43], v[38:39]
	v_fma_f64 v[20:21], v[20:21], v[72:73], -v[22:23]
	v_mul_f64 v[22:23], v[12:13], v[70:71]
	v_add_f64 v[132:133], v[42:43], -v[38:39]
	v_fma_f64 v[22:23], v[14:15], v[68:69], v[22:23]
	v_mul_f64 v[14:15], v[14:15], v[70:71]
	v_fma_f64 v[68:69], v[12:13], v[68:69], -v[14:15]
	s_waitcnt vmcnt(0)
	v_mul_f64 v[12:13], v[16:17], v[84:85]
	v_fma_f64 v[70:71], v[18:19], v[82:83], v[12:13]
	v_mul_f64 v[12:13], v[18:19], v[84:85]
	v_add_f64 v[126:127], v[22:23], v[70:71]
	v_fma_f64 v[72:73], v[16:17], v[82:83], -v[12:13]
	v_mul_f64 v[12:13], v[4:5], v[26:27]
	v_add_f64 v[16:17], v[80:81], -v[36:37]
	v_add_f64 v[128:129], v[22:23], -v[70:71]
	v_fma_f64 v[74:75], v[6:7], v[24:25], v[12:13]
	v_mul_f64 v[6:7], v[6:7], v[26:27]
	v_fma_f64 v[76:77], v[4:5], v[24:25], -v[6:7]
	v_mul_f64 v[4:5], v[8:9], v[30:31]
	v_fma_f64 v[24:25], v[10:11], v[28:29], v[4:5]
	v_mul_f64 v[4:5], v[10:11], v[30:31]
	v_fma_f64 v[26:27], v[8:9], v[28:29], -v[4:5]
	v_add_f64 v[4:5], v[78:79], v[66:67]
	v_mul_f64 v[6:7], v[4:5], s[6:7]
	v_mul_f64 v[8:9], v[4:5], s[4:5]
	;; [unrolled: 1-line block ×6, first 2 shown]
	v_fma_f64 v[18:19], v[16:17], s[18:19], v[6:7]
	v_fma_f64 v[6:7], v[16:17], s[42:43], v[6:7]
	;; [unrolled: 1-line block ×12, first 2 shown]
	v_add_f64 v[16:17], v[78:79], -v[66:67]
	v_add_f64 v[18:19], v[2:3], v[18:19]
	v_add_f64 v[6:7], v[2:3], v[6:7]
	;; [unrolled: 1-line block ×3, first 2 shown]
	v_add_f64 v[82:83], v[76:77], -v[26:27]
	v_add_f64 v[148:149], v[2:3], v[8:9]
	v_add_f64 v[156:157], v[2:3], v[84:85]
	;; [unrolled: 1-line block ×5, first 2 shown]
	v_mul_f64 v[28:29], v[16:17], s[42:43]
	v_mul_f64 v[30:31], v[16:17], s[34:35]
	;; [unrolled: 1-line block ×6, first 2 shown]
	v_fma_f64 v[98:99], v[96:97], s[6:7], v[28:29]
	v_fma_f64 v[100:101], v[96:97], s[6:7], -v[28:29]
	v_add_f64 v[28:29], v[2:3], v[78:79]
	v_add_f64 v[78:79], v[2:3], v[102:103]
	;; [unrolled: 1-line block ×3, first 2 shown]
	v_fma_f64 v[104:105], v[96:97], s[4:5], v[30:31]
	v_fma_f64 v[106:107], v[96:97], s[4:5], -v[30:31]
	v_fma_f64 v[108:109], v[96:97], s[0:1], v[90:91]
	v_fma_f64 v[90:91], v[96:97], s[0:1], -v[90:91]
	;; [unrolled: 2-line block ×5, first 2 shown]
	v_add_f64 v[30:31], v[0:1], v[80:81]
	v_add_f64 v[96:97], v[2:3], v[10:11]
	v_add_f64 v[92:93], v[2:3], v[86:87]
	v_mul_f64 v[10:11], v[126:127], s[4:5]
	v_add_f64 v[120:121], v[0:1], v[98:99]
	v_add_f64 v[142:143], v[0:1], v[100:101]
	;; [unrolled: 1-line block ×4, first 2 shown]
	v_mul_f64 v[4:5], v[102:103], s[26:27]
	v_add_f64 v[146:147], v[0:1], v[104:105]
	v_add_f64 v[154:155], v[0:1], v[106:107]
	;; [unrolled: 1-line block ×10, first 2 shown]
	v_add_f64 v[104:105], v[74:75], -v[24:25]
	v_add_f64 v[110:111], v[68:69], -v[72:73]
	v_add_f64 v[108:109], v[2:3], v[14:15]
	v_add_f64 v[112:113], v[68:69], v[72:73]
	v_add_f64 v[114:115], v[64:65], -v[20:21]
	v_add_f64 v[116:117], v[64:65], v[20:21]
	v_add_f64 v[118:119], v[34:35], -v[40:41]
	v_add_f64 v[30:31], v[30:31], v[76:77]
	v_add_f64 v[22:23], v[28:29], v[22:23]
	v_fma_f64 v[0:1], v[82:83], s[28:29], v[4:5]
	v_fma_f64 v[4:5], v[82:83], s[38:39], v[4:5]
	v_mul_f64 v[8:9], v[104:105], s[38:39]
	v_fma_f64 v[12:13], v[110:111], s[16:17], v[10:11]
	v_add_f64 v[28:29], v[30:31], v[68:69]
	v_add_f64 v[22:23], v[22:23], v[42:43]
	;; [unrolled: 1-line block ×4, first 2 shown]
	v_fma_f64 v[2:3], v[84:85], s[26:27], v[8:9]
	v_fma_f64 v[6:7], v[84:85], s[26:27], -v[8:9]
	v_fma_f64 v[8:9], v[110:111], s[34:35], v[10:11]
	v_fma_f64 v[10:11], v[124:125], s[8:9], -v[166:167]
	v_add_f64 v[28:29], v[28:29], v[64:65]
	v_add_f64 v[22:23], v[22:23], v[50:51]
	;; [unrolled: 1-line block ×3, first 2 shown]
	v_mul_f64 v[12:13], v[128:129], s[34:35]
	v_add_f64 v[2:3], v[2:3], v[120:121]
	v_add_f64 v[6:7], v[6:7], v[142:143]
	;; [unrolled: 1-line block ×5, first 2 shown]
	v_fma_f64 v[14:15], v[112:113], s[4:5], v[12:13]
	v_fma_f64 v[8:9], v[112:113], s[4:5], -v[12:13]
	v_mul_f64 v[12:13], v[102:103], s[8:9]
	v_add_f64 v[28:29], v[28:29], v[44:45]
	v_add_f64 v[22:23], v[22:23], v[46:47]
	;; [unrolled: 1-line block ×3, first 2 shown]
	v_mul_f64 v[14:15], v[130:131], s[20:21]
	v_add_f64 v[6:7], v[8:9], v[6:7]
	v_add_f64 v[28:29], v[28:29], v[48:49]
	;; [unrolled: 1-line block ×3, first 2 shown]
	v_fma_f64 v[16:17], v[114:115], s[40:41], v[14:15]
	v_fma_f64 v[8:9], v[114:115], s[30:31], v[14:15]
	v_mul_f64 v[14:15], v[104:105], s[24:25]
	v_add_f64 v[28:29], v[28:29], v[40:41]
	v_add_f64 v[22:23], v[22:23], v[38:39]
	;; [unrolled: 1-line block ×3, first 2 shown]
	v_mul_f64 v[16:17], v[132:133], s[30:31]
	v_add_f64 v[4:5], v[8:9], v[4:5]
	v_add_f64 v[20:21], v[28:29], v[20:21]
	v_add_f64 v[22:23], v[22:23], v[70:71]
	v_fma_f64 v[18:19], v[116:117], s[20:21], v[16:17]
	v_fma_f64 v[8:9], v[116:117], s[20:21], -v[16:17]
	v_mul_f64 v[16:17], v[126:127], s[20:21]
	v_add_f64 v[20:21], v[20:21], v[72:73]
	v_add_f64 v[22:23], v[22:23], v[24:25]
	v_and_b32_e32 v24, 0xffff, v173
	v_mov_b32_e32 v25, 4
	v_add_f64 v[2:3], v[18:19], v[2:3]
	v_mul_f64 v[18:19], v[134:135], s[0:1]
	v_add_f64 v[6:7], v[8:9], v[6:7]
	v_mad_u32_u24 v24, 0x4e0, v24, 0
	v_lshlrev_b32_sdwa v25, v25, v174 dst_sel:DWORD dst_unused:UNUSED_PAD src0_sel:DWORD src1_sel:BYTE_0
	v_add3_u32 v24, v24, v25, v172
	v_add_f64 v[20:21], v[20:21], v[26:27]
	v_add_f64 v[22:23], v[22:23], v[66:67]
	v_fma_f64 v[120:121], v[118:119], s[14:15], v[18:19]
	v_fma_f64 v[8:9], v[118:119], s[36:37], v[18:19]
	;; [unrolled: 1-line block ×4, first 2 shown]
	v_add_f64 v[20:21], v[20:21], v[36:37]
	v_add_f64 v[0:1], v[120:121], v[0:1]
	;; [unrolled: 1-line block ×4, first 2 shown]
	v_fma_f64 v[122:123], v[120:121], s[0:1], v[160:161]
	v_fma_f64 v[8:9], v[120:121], s[0:1], -v[160:161]
	v_add_f64 v[162:163], v[122:123], v[2:3]
	v_add_f64 v[122:123], v[44:45], -v[48:49]
	v_add_f64 v[8:9], v[8:9], v[6:7]
	v_fma_f64 v[6:7], v[122:123], s[24:25], v[164:165]
	v_fma_f64 v[2:3], v[122:123], s[22:23], v[164:165]
	v_mul_f64 v[164:165], v[138:139], s[0:1]
	v_add_f64 v[6:7], v[6:7], v[4:5]
	v_add_f64 v[4:5], v[10:11], v[8:9]
	v_fma_f64 v[8:9], v[82:83], s[22:23], v[12:13]
	v_fma_f64 v[10:11], v[84:85], s[8:9], v[14:15]
	;; [unrolled: 1-line block ×3, first 2 shown]
	v_fma_f64 v[14:15], v[84:85], s[8:9], -v[14:15]
	v_add_f64 v[2:3], v[2:3], v[0:1]
	v_fma_f64 v[0:1], v[124:125], s[8:9], v[166:167]
	v_mul_f64 v[166:167], v[140:141], s[36:37]
	v_add_f64 v[8:9], v[8:9], v[144:145]
	v_add_f64 v[10:11], v[10:11], v[146:147]
	;; [unrolled: 1-line block ×6, first 2 shown]
	v_mul_f64 v[18:19], v[128:129], s[40:41]
	v_add_f64 v[12:13], v[16:17], v[12:13]
	v_fma_f64 v[142:143], v[112:113], s[20:21], v[18:19]
	v_fma_f64 v[16:17], v[112:113], s[20:21], -v[18:19]
	v_fma_f64 v[18:19], v[124:125], s[0:1], -v[166:167]
	v_add_f64 v[10:11], v[142:143], v[10:11]
	v_mul_f64 v[142:143], v[130:131], s[6:7]
	v_add_f64 v[14:15], v[16:17], v[14:15]
	v_fma_f64 v[144:145], v[114:115], s[42:43], v[142:143]
	v_fma_f64 v[16:17], v[114:115], s[18:19], v[142:143]
	v_mul_f64 v[142:143], v[102:103], s[4:5]
	v_add_f64 v[8:9], v[144:145], v[8:9]
	v_mul_f64 v[144:145], v[132:133], s[18:19]
	v_add_f64 v[12:13], v[16:17], v[12:13]
	v_fma_f64 v[146:147], v[116:117], s[6:7], v[144:145]
	v_fma_f64 v[16:17], v[116:117], s[6:7], -v[144:145]
	v_mul_f64 v[144:145], v[104:105], s[16:17]
	v_add_f64 v[10:11], v[146:147], v[10:11]
	v_mul_f64 v[146:147], v[134:135], s[26:27]
	v_add_f64 v[14:15], v[16:17], v[14:15]
	v_fma_f64 v[160:161], v[118:119], s[28:29], v[146:147]
	v_fma_f64 v[16:17], v[118:119], s[38:39], v[146:147]
	v_mul_f64 v[146:147], v[126:127], s[26:27]
	v_add_f64 v[8:9], v[160:161], v[8:9]
	v_mul_f64 v[160:161], v[136:137], s[38:39]
	v_add_f64 v[12:13], v[16:17], v[12:13]
	v_fma_f64 v[148:149], v[110:111], s[28:29], v[146:147]
	v_fma_f64 v[16:17], v[120:121], s[26:27], -v[160:161]
	v_fma_f64 v[162:163], v[120:121], s[26:27], v[160:161]
	v_add_f64 v[16:17], v[16:17], v[14:15]
	v_fma_f64 v[14:15], v[122:123], s[36:37], v[164:165]
	v_add_f64 v[162:163], v[162:163], v[10:11]
	v_fma_f64 v[10:11], v[122:123], s[14:15], v[164:165]
	v_mul_f64 v[164:165], v[140:141], s[30:31]
	v_add_f64 v[14:15], v[14:15], v[12:13]
	v_add_f64 v[12:13], v[18:19], v[16:17]
	v_fma_f64 v[16:17], v[82:83], s[34:35], v[142:143]
	v_fma_f64 v[18:19], v[84:85], s[4:5], v[144:145]
	v_add_f64 v[10:11], v[10:11], v[8:9]
	v_fma_f64 v[8:9], v[124:125], s[0:1], v[166:167]
	v_fma_f64 v[142:143], v[82:83], s[16:17], v[142:143]
	v_add_f64 v[16:17], v[16:17], v[156:157]
	v_add_f64 v[18:19], v[18:19], v[158:159]
	;; [unrolled: 1-line block ×4, first 2 shown]
	v_fma_f64 v[142:143], v[84:85], s[4:5], -v[144:145]
	v_fma_f64 v[144:145], v[124:125], s[20:21], -v[164:165]
	v_add_f64 v[16:17], v[148:149], v[16:17]
	v_mul_f64 v[148:149], v[128:129], s[38:39]
	v_add_f64 v[94:95], v[142:143], v[94:95]
	v_fma_f64 v[142:143], v[110:111], s[38:39], v[146:147]
	v_fma_f64 v[154:155], v[112:113], s[26:27], v[148:149]
	v_add_f64 v[96:97], v[142:143], v[96:97]
	v_fma_f64 v[142:143], v[112:113], s[26:27], -v[148:149]
	v_add_f64 v[18:19], v[154:155], v[18:19]
	v_mul_f64 v[154:155], v[130:131], s[8:9]
	v_add_f64 v[94:95], v[142:143], v[94:95]
	v_fma_f64 v[156:157], v[114:115], s[24:25], v[154:155]
	v_fma_f64 v[142:143], v[114:115], s[22:23], v[154:155]
	v_add_f64 v[16:17], v[156:157], v[16:17]
	v_mul_f64 v[156:157], v[132:133], s[22:23]
	v_add_f64 v[96:97], v[142:143], v[96:97]
	v_fma_f64 v[158:159], v[116:117], s[8:9], v[156:157]
	v_fma_f64 v[142:143], v[116:117], s[8:9], -v[156:157]
	v_add_f64 v[18:19], v[158:159], v[18:19]
	v_mul_f64 v[158:159], v[134:135], s[6:7]
	v_add_f64 v[94:95], v[142:143], v[94:95]
	v_fma_f64 v[160:161], v[118:119], s[42:43], v[158:159]
	v_fma_f64 v[142:143], v[118:119], s[18:19], v[158:159]
	v_add_f64 v[16:17], v[160:161], v[16:17]
	v_mul_f64 v[160:161], v[136:137], s[18:19]
	v_add_f64 v[96:97], v[142:143], v[96:97]
	v_fma_f64 v[162:163], v[120:121], s[6:7], v[160:161]
	v_fma_f64 v[142:143], v[120:121], s[6:7], -v[160:161]
	v_add_f64 v[166:167], v[162:163], v[18:19]
	v_mul_f64 v[162:163], v[138:139], s[20:21]
	v_add_f64 v[94:95], v[142:143], v[94:95]
	v_fma_f64 v[18:19], v[122:123], s[40:41], v[162:163]
	v_fma_f64 v[142:143], v[122:123], s[30:31], v[162:163]
	v_add_f64 v[94:95], v[144:145], v[94:95]
	v_add_f64 v[18:19], v[18:19], v[16:17]
	v_fma_f64 v[16:17], v[124:125], s[20:21], v[164:165]
	v_add_f64 v[96:97], v[142:143], v[96:97]
	v_add_f64 v[16:17], v[16:17], v[166:167]
	v_mul_f64 v[166:167], v[102:103], s[20:21]
	v_fma_f64 v[175:176], v[82:83], s[40:41], v[166:167]
	v_add_f64 v[152:153], v[175:176], v[152:153]
	v_mul_f64 v[175:176], v[104:105], s[40:41]
	v_fma_f64 v[177:178], v[84:85], s[20:21], -v[175:176]
	v_add_f64 v[150:151], v[177:178], v[150:151]
	v_mul_f64 v[177:178], v[126:127], s[8:9]
	v_fma_f64 v[179:180], v[110:111], s[22:23], v[177:178]
	v_add_f64 v[152:153], v[179:180], v[152:153]
	v_mul_f64 v[179:180], v[128:129], s[22:23]
	v_fma_f64 v[181:182], v[112:113], s[8:9], -v[179:180]
	;; [unrolled: 6-line block ×5, first 2 shown]
	v_add_f64 v[150:151], v[193:194], v[150:151]
	v_mul_f64 v[193:194], v[102:103], s[0:1]
	v_mul_f64 v[102:103], v[102:103], s[6:7]
	v_fma_f64 v[195:196], v[82:83], s[36:37], v[193:194]
	v_add_f64 v[108:109], v[195:196], v[108:109]
	v_mul_f64 v[195:196], v[104:105], s[36:37]
	v_mul_f64 v[104:105], v[104:105], s[42:43]
	v_fma_f64 v[197:198], v[84:85], s[0:1], -v[195:196]
	v_add_f64 v[106:107], v[197:198], v[106:107]
	v_mul_f64 v[197:198], v[126:127], s[6:7]
	v_mul_f64 v[126:127], v[126:127], s[0:1]
	v_fma_f64 v[199:200], v[110:111], s[42:43], v[197:198]
	v_add_f64 v[108:109], v[199:200], v[108:109]
	v_mul_f64 v[199:200], v[128:129], s[42:43]
	v_mul_f64 v[128:129], v[128:129], s[14:15]
	v_fma_f64 v[201:202], v[112:113], s[6:7], -v[199:200]
	;; [unrolled: 8-line block ×5, first 2 shown]
	v_add_f64 v[106:107], v[213:214], v[106:107]
	v_fma_f64 v[213:214], v[82:83], s[42:43], v[102:103]
	v_fma_f64 v[102:103], v[82:83], s[18:19], v[102:103]
	v_add_f64 v[100:101], v[213:214], v[100:101]
	v_add_f64 v[92:93], v[102:103], v[92:93]
	v_fma_f64 v[102:103], v[84:85], s[6:7], v[104:105]
	v_fma_f64 v[213:214], v[84:85], s[6:7], -v[104:105]
	v_fma_f64 v[104:105], v[124:125], s[4:5], v[140:141]
	v_add_f64 v[90:91], v[102:103], v[90:91]
	v_fma_f64 v[102:103], v[110:111], s[36:37], v[126:127]
	v_add_f64 v[98:99], v[213:214], v[98:99]
	;; [unrolled: 2-line block ×4, first 2 shown]
	v_fma_f64 v[213:214], v[112:113], s[0:1], -v[128:129]
	v_add_f64 v[90:91], v[102:103], v[90:91]
	v_fma_f64 v[102:103], v[114:115], s[28:29], v[130:131]
	v_add_f64 v[98:99], v[213:214], v[98:99]
	v_fma_f64 v[213:214], v[114:115], s[38:39], v[130:131]
	;; [unrolled: 2-line block ×3, first 2 shown]
	v_add_f64 v[100:101], v[213:214], v[100:101]
	v_fma_f64 v[213:214], v[116:117], s[26:27], -v[132:133]
	v_add_f64 v[90:91], v[102:103], v[90:91]
	v_fma_f64 v[102:103], v[118:119], s[30:31], v[134:135]
	v_add_f64 v[98:99], v[213:214], v[98:99]
	v_fma_f64 v[213:214], v[118:119], s[40:41], v[134:135]
	;; [unrolled: 2-line block ×3, first 2 shown]
	v_add_f64 v[100:101], v[213:214], v[100:101]
	v_fma_f64 v[213:214], v[120:121], s[20:21], -v[136:137]
	v_add_f64 v[90:91], v[102:103], v[90:91]
	v_fma_f64 v[102:103], v[122:123], s[16:17], v[138:139]
	v_add_f64 v[98:99], v[213:214], v[98:99]
	v_fma_f64 v[213:214], v[122:123], s[34:35], v[138:139]
	v_add_f64 v[90:91], v[104:105], v[90:91]
	v_add_f64 v[92:93], v[102:103], v[92:93]
	v_fma_f64 v[102:103], v[82:83], s[14:15], v[193:194]
	v_fma_f64 v[104:105], v[124:125], s[26:27], v[211:212]
	;; [unrolled: 1-line block ×3, first 2 shown]
	v_add_f64 v[100:101], v[213:214], v[100:101]
	v_fma_f64 v[213:214], v[124:125], s[4:5], -v[140:141]
	v_add_f64 v[88:89], v[102:103], v[88:89]
	v_fma_f64 v[102:103], v[84:85], s[0:1], v[195:196]
	v_fma_f64 v[84:85], v[84:85], s[20:21], v[175:176]
	v_add_f64 v[78:79], v[82:83], v[78:79]
	v_fma_f64 v[82:83], v[114:115], s[14:15], v[181:182]
	v_add_f64 v[98:99], v[213:214], v[98:99]
	v_add_f64 v[86:87], v[102:103], v[86:87]
	v_fma_f64 v[102:103], v[110:111], s[18:19], v[197:198]
	v_add_f64 v[80:81], v[84:85], v[80:81]
	v_fma_f64 v[84:85], v[116:117], s[0:1], v[183:184]
	;; [unrolled: 2-line block ×8, first 2 shown]
	v_add_f64 v[86:87], v[104:105], v[86:87]
	v_add_f64 v[88:89], v[102:103], v[88:89]
	v_fma_f64 v[102:103], v[110:111], s[24:25], v[177:178]
	v_fma_f64 v[104:105], v[112:113], s[8:9], v[179:180]
	v_add_f64 v[78:79], v[102:103], v[78:79]
	v_add_f64 v[80:81], v[104:105], v[80:81]
	v_fma_f64 v[102:103], v[118:119], s[16:17], v[185:186]
	v_fma_f64 v[104:105], v[120:121], s[4:5], v[187:188]
	;; [unrolled: 4-line block ×3, first 2 shown]
	v_add_f64 v[78:79], v[102:103], v[78:79]
	v_add_f64 v[102:103], v[104:105], v[80:81]
	;; [unrolled: 1-line block ×4, first 2 shown]
	ds_write_b128 v24, v[150:153] offset:96
	ds_write_b128 v24, v[106:109] offset:192
	;; [unrolled: 1-line block ×11, first 2 shown]
	ds_write_b128 v24, v[20:23]
	ds_write_b128 v24, v[78:81] offset:1152
.LBB0_26:
	s_or_b32 exec_lo, exec_lo, s33
	v_lshlrev_b32_e32 v0, 2, v56
	v_mov_b32_e32 v1, 0
	s_waitcnt lgkmcnt(0)
	s_barrier
	buffer_gl0_inv
	s_mov_b32 s8, 0x134454ff
	v_lshlrev_b64 v[2:3], 4, v[0:1]
	s_mov_b32 s9, 0x3fee6f0e
	s_mov_b32 s15, 0xbfee6f0e
	;; [unrolled: 1-line block ×5, first 2 shown]
	v_add_co_u32 v14, s0, s12, v2
	v_add_co_ci_u32_e64 v15, s0, s13, v3, s0
	v_add_co_u32 v0, s0, s12, v58
	s_clause 0x3
	global_load_dwordx4 v[2:5], v[14:15], off offset:1216
	global_load_dwordx4 v[6:9], v[14:15], off offset:1232
	;; [unrolled: 1-line block ×4, first 2 shown]
	ds_read_b128 v[18:21], v57 offset:2496
	ds_read_b128 v[22:25], v57 offset:4992
	ds_read_b128 v[26:29], v57 offset:7488
	ds_read_b128 v[30:33], v57 offset:9984
	ds_read_b128 v[34:37], v57 offset:3744
	ds_read_b128 v[38:41], v57 offset:6240
	ds_read_b128 v[42:45], v57 offset:8736
	ds_read_b128 v[46:49], v57 offset:11232
	ds_read_b128 v[62:65], v170
	ds_read_b128 v[66:69], v57 offset:1248
	v_add_co_ci_u32_e64 v110, s0, s13, v59, s0
	s_mov_b32 s1, 0xbfe2cf23
	s_mov_b32 s0, s6
	;; [unrolled: 1-line block ×4, first 2 shown]
	s_waitcnt vmcnt(0) lgkmcnt(0)
	s_barrier
	buffer_gl0_inv
	v_mul_f64 v[50:51], v[20:21], v[4:5]
	v_mul_f64 v[72:73], v[24:25], v[8:9]
	;; [unrolled: 1-line block ×16, first 2 shown]
	v_fma_f64 v[18:19], v[18:19], v[2:3], -v[50:51]
	v_fma_f64 v[22:23], v[22:23], v[6:7], -v[72:73]
	v_fma_f64 v[24:25], v[24:25], v[6:7], v[74:75]
	v_fma_f64 v[26:27], v[26:27], v[10:11], -v[76:77]
	v_fma_f64 v[28:29], v[28:29], v[10:11], v[78:79]
	v_fma_f64 v[20:21], v[20:21], v[2:3], v[70:71]
	;; [unrolled: 1-line block ×3, first 2 shown]
	v_fma_f64 v[30:31], v[30:31], v[14:15], -v[82:83]
	v_fma_f64 v[34:35], v[34:35], v[2:3], -v[84:85]
	v_fma_f64 v[2:3], v[36:37], v[2:3], v[4:5]
	v_fma_f64 v[4:5], v[38:39], v[6:7], -v[86:87]
	v_fma_f64 v[6:7], v[40:41], v[6:7], v[8:9]
	;; [unrolled: 2-line block ×4, first 2 shown]
	v_add_f64 v[16:17], v[62:63], v[18:19]
	v_add_f64 v[42:43], v[18:19], -v[22:23]
	v_add_f64 v[48:49], v[22:23], -v[18:19]
	v_add_f64 v[36:37], v[22:23], v[26:27]
	v_add_f64 v[70:71], v[24:25], v[28:29]
	;; [unrolled: 1-line block ×5, first 2 shown]
	v_add_f64 v[44:45], v[30:31], -v[26:27]
	v_add_f64 v[50:51], v[26:27], -v[30:31]
	v_add_f64 v[84:85], v[66:67], v[34:35]
	v_add_f64 v[104:105], v[68:69], v[2:3]
	;; [unrolled: 1-line block ×6, first 2 shown]
	v_add_f64 v[38:39], v[20:21], -v[32:33]
	v_add_f64 v[18:19], v[18:19], -v[30:31]
	;; [unrolled: 1-line block ×9, first 2 shown]
	v_fma_f64 v[36:37], v[36:37], -0.5, v[62:63]
	v_fma_f64 v[70:71], v[70:71], -0.5, v[64:65]
	v_add_f64 v[96:97], v[34:35], -v[4:5]
	v_fma_f64 v[64:65], v[78:79], -0.5, v[64:65]
	v_fma_f64 v[46:47], v[46:47], -0.5, v[62:63]
	v_add_f64 v[100:101], v[4:5], -v[34:35]
	v_add_f64 v[34:35], v[34:35], -v[12:13]
	v_add_f64 v[42:43], v[42:43], v[44:45]
	v_add_f64 v[92:93], v[6:7], -v[10:11]
	v_fma_f64 v[82:83], v[82:83], -0.5, v[66:67]
	v_fma_f64 v[44:45], v[90:91], -0.5, v[68:69]
	v_add_f64 v[98:99], v[12:13], -v[8:9]
	v_add_f64 v[106:107], v[4:5], -v[8:9]
	v_add_f64 v[16:17], v[16:17], v[22:23]
	v_fma_f64 v[22:23], v[86:87], -0.5, v[66:67]
	v_add_f64 v[48:49], v[48:49], v[50:51]
	v_fma_f64 v[50:51], v[94:95], -0.5, v[68:69]
	v_add_f64 v[108:109], v[2:3], -v[6:7]
	v_add_f64 v[2:3], v[6:7], -v[2:3]
	;; [unrolled: 1-line block ×3, first 2 shown]
	v_add_f64 v[24:25], v[58:59], v[24:25]
	v_add_f64 v[4:5], v[84:85], v[4:5]
	;; [unrolled: 1-line block ×4, first 2 shown]
	v_fma_f64 v[20:21], v[38:39], s[8:9], v[36:37]
	v_fma_f64 v[36:37], v[38:39], s[14:15], v[36:37]
	;; [unrolled: 1-line block ×3, first 2 shown]
	v_add_f64 v[58:59], v[74:75], v[76:77]
	v_fma_f64 v[76:77], v[40:41], s[14:15], v[46:47]
	v_fma_f64 v[84:85], v[72:73], s[8:9], v[64:65]
	;; [unrolled: 1-line block ×5, first 2 shown]
	v_add_f64 v[62:63], v[14:15], -v[10:11]
	v_fma_f64 v[86:87], v[88:89], s[8:9], v[82:83]
	v_fma_f64 v[94:95], v[34:35], s[14:15], v[44:45]
	v_add_f64 v[102:103], v[8:9], -v[12:13]
	v_add_f64 v[68:69], v[96:97], v[98:99]
	v_fma_f64 v[82:83], v[88:89], s[14:15], v[82:83]
	v_fma_f64 v[90:91], v[92:93], s[14:15], v[22:23]
	;; [unrolled: 1-line block ×6, first 2 shown]
	v_add_f64 v[78:79], v[2:3], v[78:79]
	v_add_f64 v[2:3], v[16:17], v[26:27]
	;; [unrolled: 1-line block ×5, first 2 shown]
	v_fma_f64 v[20:21], v[40:41], s[6:7], v[20:21]
	v_fma_f64 v[24:25], v[40:41], s[0:1], v[36:37]
	;; [unrolled: 1-line block ×8, first 2 shown]
	v_add_f64 v[62:63], v[108:109], v[62:63]
	v_fma_f64 v[64:65], v[92:93], s[6:7], v[86:87]
	v_fma_f64 v[80:81], v[106:107], s[0:1], v[94:95]
	v_add_f64 v[74:75], v[100:101], v[102:103]
	v_fma_f64 v[70:71], v[92:93], s[0:1], v[82:83]
	v_fma_f64 v[72:73], v[88:89], s[6:7], v[90:91]
	;; [unrolled: 1-line block ×6, first 2 shown]
	v_add_f64 v[2:3], v[2:3], v[30:31]
	v_add_f64 v[4:5], v[16:17], v[32:33]
	;; [unrolled: 1-line block ×4, first 2 shown]
	v_fma_f64 v[10:11], v[42:43], s[4:5], v[20:21]
	v_fma_f64 v[14:15], v[42:43], s[4:5], v[24:25]
	;; [unrolled: 1-line block ×8, first 2 shown]
	v_add_co_u32 v60, s0, s12, v60
	v_fma_f64 v[26:27], v[68:69], s[4:5], v[64:65]
	v_fma_f64 v[28:29], v[62:63], s[4:5], v[80:81]
	;; [unrolled: 1-line block ×8, first 2 shown]
	v_add_co_ci_u32_e64 v61, s0, s13, v61, s0
	v_add_co_u32 v42, s0, 0x1800, v0
	v_add_co_ci_u32_e64 v43, s0, 0, v110, s0
	v_add_co_u32 v44, s0, 0x1800, v60
	;; [unrolled: 2-line block ×3, first 2 shown]
	v_add_co_ci_u32_e64 v47, s0, 0, v61, s0
	ds_write_b128 v57, v[2:5]
	ds_write_b128 v57, v[6:9] offset:6240
	ds_write_b128 v57, v[10:13] offset:1248
	;; [unrolled: 1-line block ×9, first 2 shown]
	v_add_co_u32 v18, s0, 0x2800, v60
	s_waitcnt lgkmcnt(0)
	s_barrier
	buffer_gl0_inv
	s_clause 0x1
	global_load_dwordx4 v[2:5], v[42:43], off offset:64
	global_load_dwordx4 v[6:9], v[44:45], off offset:1312
	v_add_co_ci_u32_e64 v19, s0, 0, v61, s0
	s_clause 0x2
	global_load_dwordx4 v[10:13], v[46:47], off offset:512
	global_load_dwordx4 v[14:17], v[46:47], off offset:1760
	;; [unrolled: 1-line block ×3, first 2 shown]
	ds_read_b128 v[22:25], v57 offset:6240
	ds_read_b128 v[26:29], v57 offset:7488
	;; [unrolled: 1-line block ×6, first 2 shown]
	ds_read_b128 v[46:49], v170
	ds_read_b128 v[58:61], v57 offset:1248
	ds_read_b128 v[62:65], v57 offset:2496
	;; [unrolled: 1-line block ×3, first 2 shown]
	v_lshl_add_u32 v0, v168, 4, v171
	s_waitcnt vmcnt(0) lgkmcnt(0)
	s_barrier
	buffer_gl0_inv
	v_mul_f64 v[50:51], v[24:25], v[4:5]
	v_mul_f64 v[4:5], v[22:23], v[4:5]
	v_mul_f64 v[70:71], v[28:29], v[8:9]
	v_mul_f64 v[8:9], v[26:27], v[8:9]
	v_mul_f64 v[72:73], v[32:33], v[12:13]
	v_mul_f64 v[12:13], v[30:31], v[12:13]
	v_mul_f64 v[74:75], v[36:37], v[16:17]
	v_mul_f64 v[16:17], v[34:35], v[16:17]
	v_mul_f64 v[76:77], v[40:41], v[20:21]
	v_mul_f64 v[20:21], v[38:39], v[20:21]
	v_fma_f64 v[22:23], v[22:23], v[2:3], -v[50:51]
	v_fma_f64 v[4:5], v[24:25], v[2:3], v[4:5]
	v_fma_f64 v[24:25], v[26:27], v[6:7], -v[70:71]
	v_fma_f64 v[8:9], v[28:29], v[6:7], v[8:9]
	v_fma_f64 v[26:27], v[30:31], v[10:11], -v[72:73]
	v_fma_f64 v[12:13], v[32:33], v[10:11], v[12:13]
	v_fma_f64 v[28:29], v[34:35], v[14:15], -v[74:75]
	v_fma_f64 v[16:17], v[36:37], v[14:15], v[16:17]
	v_fma_f64 v[30:31], v[38:39], v[18:19], -v[76:77]
	v_fma_f64 v[20:21], v[40:41], v[18:19], v[20:21]
	v_add_f64 v[2:3], v[46:47], -v[22:23]
	v_add_f64 v[4:5], v[48:49], -v[4:5]
	;; [unrolled: 1-line block ×10, first 2 shown]
	v_fma_f64 v[22:23], v[46:47], 2.0, -v[2:3]
	v_fma_f64 v[24:25], v[48:49], 2.0, -v[4:5]
	;; [unrolled: 1-line block ×10, first 2 shown]
	ds_write_b128 v57, v[2:5] offset:6240
	ds_write_b128 v0, v[6:9] offset:7488
	;; [unrolled: 1-line block ×5, first 2 shown]
	ds_write_b128 v57, v[22:25]
	ds_write_b128 v57, v[26:29] offset:1248
	ds_write_b128 v57, v[30:33] offset:2496
	;; [unrolled: 1-line block ×4, first 2 shown]
	s_waitcnt lgkmcnt(0)
	s_barrier
	buffer_gl0_inv
	s_and_saveexec_b32 s0, vcc_lo
	s_cbranch_execz .LBB0_28
; %bb.27:
	v_mul_lo_u32 v0, s3, v54
	v_mul_lo_u32 v4, s2, v55
	v_mad_u64_u32 v[2:3], null, s2, v54, 0
	v_lshl_add_u32 v28, v56, 4, v169
	v_mov_b32_e32 v57, v1
	v_lshlrev_b64 v[10:11], 4, v[52:53]
	v_lshlrev_b64 v[14:15], 4, v[56:57]
	v_add3_u32 v3, v3, v4, v0
	v_add_nc_u32_e32 v0, 0x4e, v56
	v_lshlrev_b64 v[12:13], 4, v[2:3]
	ds_read_b128 v[2:5], v28
	ds_read_b128 v[6:9], v28 offset:1248
	v_add_co_u32 v16, vcc_lo, s10, v12
	v_add_co_ci_u32_e32 v17, vcc_lo, s11, v13, vcc_lo
	v_lshlrev_b64 v[12:13], 4, v[0:1]
	v_add_co_u32 v30, vcc_lo, v16, v10
	v_add_co_ci_u32_e32 v31, vcc_lo, v17, v11, vcc_lo
	v_add_nc_u32_e32 v0, 0x9c, v56
	v_add_co_u32 v10, vcc_lo, v30, v14
	v_add_co_ci_u32_e32 v11, vcc_lo, v31, v15, vcc_lo
	v_add_co_u32 v12, vcc_lo, v30, v12
	v_add_co_ci_u32_e32 v13, vcc_lo, v31, v13, vcc_lo
	s_waitcnt lgkmcnt(1)
	global_store_dwordx4 v[10:11], v[2:5], off
	s_waitcnt lgkmcnt(0)
	global_store_dwordx4 v[12:13], v[6:9], off
	v_lshlrev_b64 v[14:15], 4, v[0:1]
	v_add_nc_u32_e32 v0, 0xea, v56
	ds_read_b128 v[2:5], v28 offset:2496
	ds_read_b128 v[6:9], v28 offset:3744
	;; [unrolled: 1-line block ×3, first 2 shown]
	v_lshlrev_b64 v[16:17], 4, v[0:1]
	v_add_nc_u32_e32 v0, 0x138, v56
	v_add_co_u32 v14, vcc_lo, v30, v14
	v_add_co_ci_u32_e32 v15, vcc_lo, v31, v15, vcc_lo
	v_lshlrev_b64 v[18:19], 4, v[0:1]
	v_add_nc_u32_e32 v0, 0x186, v56
	v_add_co_u32 v16, vcc_lo, v30, v16
	v_add_co_ci_u32_e32 v17, vcc_lo, v31, v17, vcc_lo
	v_lshlrev_b64 v[20:21], 4, v[0:1]
	v_add_nc_u32_e32 v0, 0x1d4, v56
	v_add_co_u32 v18, vcc_lo, v30, v18
	s_waitcnt lgkmcnt(2)
	global_store_dwordx4 v[14:15], v[2:5], off
	s_waitcnt lgkmcnt(1)
	global_store_dwordx4 v[16:17], v[6:9], off
	v_add_co_ci_u32_e32 v19, vcc_lo, v31, v19, vcc_lo
	v_lshlrev_b64 v[6:7], 4, v[0:1]
	v_add_co_u32 v22, vcc_lo, v30, v20
	v_add_nc_u32_e32 v0, 0x222, v56
	v_add_co_ci_u32_e32 v23, vcc_lo, v31, v21, vcc_lo
	v_add_co_u32 v24, vcc_lo, v30, v6
	s_waitcnt lgkmcnt(0)
	global_store_dwordx4 v[18:19], v[10:13], off
	ds_read_b128 v[2:5], v28 offset:6240
	v_add_co_ci_u32_e32 v25, vcc_lo, v31, v7, vcc_lo
	ds_read_b128 v[6:9], v28 offset:7488
	ds_read_b128 v[10:13], v28 offset:8736
	;; [unrolled: 1-line block ×4, first 2 shown]
	v_lshlrev_b64 v[26:27], 4, v[0:1]
	v_add_nc_u32_e32 v0, 0x270, v56
	v_lshlrev_b64 v[28:29], 4, v[0:1]
	v_add_nc_u32_e32 v0, 0x2be, v56
	v_add_co_u32 v26, vcc_lo, v30, v26
	v_add_co_ci_u32_e32 v27, vcc_lo, v31, v27, vcc_lo
	v_lshlrev_b64 v[0:1], 4, v[0:1]
	v_add_co_u32 v28, vcc_lo, v30, v28
	v_add_co_ci_u32_e32 v29, vcc_lo, v31, v29, vcc_lo
	v_add_co_u32 v0, vcc_lo, v30, v0
	v_add_co_ci_u32_e32 v1, vcc_lo, v31, v1, vcc_lo
	s_waitcnt lgkmcnt(4)
	global_store_dwordx4 v[22:23], v[2:5], off
	s_waitcnt lgkmcnt(3)
	global_store_dwordx4 v[24:25], v[6:9], off
	;; [unrolled: 2-line block ×5, first 2 shown]
.LBB0_28:
	s_endpgm
	.section	.rodata,"a",@progbits
	.p2align	6, 0x0
	.amdhsa_kernel fft_rtc_fwd_len780_factors_2_3_13_5_2_wgs_234_tpt_78_halfLds_dp_op_CI_CI_unitstride_sbrr_C2R_dirReg
		.amdhsa_group_segment_fixed_size 0
		.amdhsa_private_segment_fixed_size 0
		.amdhsa_kernarg_size 104
		.amdhsa_user_sgpr_count 6
		.amdhsa_user_sgpr_private_segment_buffer 1
		.amdhsa_user_sgpr_dispatch_ptr 0
		.amdhsa_user_sgpr_queue_ptr 0
		.amdhsa_user_sgpr_kernarg_segment_ptr 1
		.amdhsa_user_sgpr_dispatch_id 0
		.amdhsa_user_sgpr_flat_scratch_init 0
		.amdhsa_user_sgpr_private_segment_size 0
		.amdhsa_wavefront_size32 1
		.amdhsa_uses_dynamic_stack 0
		.amdhsa_system_sgpr_private_segment_wavefront_offset 0
		.amdhsa_system_sgpr_workgroup_id_x 1
		.amdhsa_system_sgpr_workgroup_id_y 0
		.amdhsa_system_sgpr_workgroup_id_z 0
		.amdhsa_system_sgpr_workgroup_info 0
		.amdhsa_system_vgpr_workitem_id 0
		.amdhsa_next_free_vgpr 215
		.amdhsa_next_free_sgpr 44
		.amdhsa_reserve_vcc 1
		.amdhsa_reserve_flat_scratch 0
		.amdhsa_float_round_mode_32 0
		.amdhsa_float_round_mode_16_64 0
		.amdhsa_float_denorm_mode_32 3
		.amdhsa_float_denorm_mode_16_64 3
		.amdhsa_dx10_clamp 1
		.amdhsa_ieee_mode 1
		.amdhsa_fp16_overflow 0
		.amdhsa_workgroup_processor_mode 1
		.amdhsa_memory_ordered 1
		.amdhsa_forward_progress 0
		.amdhsa_shared_vgpr_count 0
		.amdhsa_exception_fp_ieee_invalid_op 0
		.amdhsa_exception_fp_denorm_src 0
		.amdhsa_exception_fp_ieee_div_zero 0
		.amdhsa_exception_fp_ieee_overflow 0
		.amdhsa_exception_fp_ieee_underflow 0
		.amdhsa_exception_fp_ieee_inexact 0
		.amdhsa_exception_int_div_zero 0
	.end_amdhsa_kernel
	.text
.Lfunc_end0:
	.size	fft_rtc_fwd_len780_factors_2_3_13_5_2_wgs_234_tpt_78_halfLds_dp_op_CI_CI_unitstride_sbrr_C2R_dirReg, .Lfunc_end0-fft_rtc_fwd_len780_factors_2_3_13_5_2_wgs_234_tpt_78_halfLds_dp_op_CI_CI_unitstride_sbrr_C2R_dirReg
                                        ; -- End function
	.section	.AMDGPU.csdata,"",@progbits
; Kernel info:
; codeLenInByte = 11516
; NumSgprs: 46
; NumVgprs: 215
; ScratchSize: 0
; MemoryBound: 0
; FloatMode: 240
; IeeeMode: 1
; LDSByteSize: 0 bytes/workgroup (compile time only)
; SGPRBlocks: 5
; VGPRBlocks: 26
; NumSGPRsForWavesPerEU: 46
; NumVGPRsForWavesPerEU: 215
; Occupancy: 4
; WaveLimiterHint : 1
; COMPUTE_PGM_RSRC2:SCRATCH_EN: 0
; COMPUTE_PGM_RSRC2:USER_SGPR: 6
; COMPUTE_PGM_RSRC2:TRAP_HANDLER: 0
; COMPUTE_PGM_RSRC2:TGID_X_EN: 1
; COMPUTE_PGM_RSRC2:TGID_Y_EN: 0
; COMPUTE_PGM_RSRC2:TGID_Z_EN: 0
; COMPUTE_PGM_RSRC2:TIDIG_COMP_CNT: 0
	.text
	.p2alignl 6, 3214868480
	.fill 48, 4, 3214868480
	.type	__hip_cuid_890b2d03787fcc10,@object ; @__hip_cuid_890b2d03787fcc10
	.section	.bss,"aw",@nobits
	.globl	__hip_cuid_890b2d03787fcc10
__hip_cuid_890b2d03787fcc10:
	.byte	0                               ; 0x0
	.size	__hip_cuid_890b2d03787fcc10, 1

	.ident	"AMD clang version 19.0.0git (https://github.com/RadeonOpenCompute/llvm-project roc-6.4.0 25133 c7fe45cf4b819c5991fe208aaa96edf142730f1d)"
	.section	".note.GNU-stack","",@progbits
	.addrsig
	.addrsig_sym __hip_cuid_890b2d03787fcc10
	.amdgpu_metadata
---
amdhsa.kernels:
  - .args:
      - .actual_access:  read_only
        .address_space:  global
        .offset:         0
        .size:           8
        .value_kind:     global_buffer
      - .offset:         8
        .size:           8
        .value_kind:     by_value
      - .actual_access:  read_only
        .address_space:  global
        .offset:         16
        .size:           8
        .value_kind:     global_buffer
      - .actual_access:  read_only
        .address_space:  global
        .offset:         24
        .size:           8
        .value_kind:     global_buffer
      - .actual_access:  read_only
        .address_space:  global
        .offset:         32
        .size:           8
        .value_kind:     global_buffer
      - .offset:         40
        .size:           8
        .value_kind:     by_value
      - .actual_access:  read_only
        .address_space:  global
        .offset:         48
        .size:           8
        .value_kind:     global_buffer
      - .actual_access:  read_only
        .address_space:  global
        .offset:         56
        .size:           8
        .value_kind:     global_buffer
      - .offset:         64
        .size:           4
        .value_kind:     by_value
      - .actual_access:  read_only
        .address_space:  global
        .offset:         72
        .size:           8
        .value_kind:     global_buffer
      - .actual_access:  read_only
        .address_space:  global
        .offset:         80
        .size:           8
        .value_kind:     global_buffer
      - .actual_access:  read_only
        .address_space:  global
        .offset:         88
        .size:           8
        .value_kind:     global_buffer
      - .actual_access:  write_only
        .address_space:  global
        .offset:         96
        .size:           8
        .value_kind:     global_buffer
    .group_segment_fixed_size: 0
    .kernarg_segment_align: 8
    .kernarg_segment_size: 104
    .language:       OpenCL C
    .language_version:
      - 2
      - 0
    .max_flat_workgroup_size: 234
    .name:           fft_rtc_fwd_len780_factors_2_3_13_5_2_wgs_234_tpt_78_halfLds_dp_op_CI_CI_unitstride_sbrr_C2R_dirReg
    .private_segment_fixed_size: 0
    .sgpr_count:     46
    .sgpr_spill_count: 0
    .symbol:         fft_rtc_fwd_len780_factors_2_3_13_5_2_wgs_234_tpt_78_halfLds_dp_op_CI_CI_unitstride_sbrr_C2R_dirReg.kd
    .uniform_work_group_size: 1
    .uses_dynamic_stack: false
    .vgpr_count:     215
    .vgpr_spill_count: 0
    .wavefront_size: 32
    .workgroup_processor_mode: 1
amdhsa.target:   amdgcn-amd-amdhsa--gfx1030
amdhsa.version:
  - 1
  - 2
...

	.end_amdgpu_metadata
